;; amdgpu-corpus repo=ROCm/rocFFT kind=compiled arch=gfx906 opt=O3
	.text
	.amdgcn_target "amdgcn-amd-amdhsa--gfx906"
	.amdhsa_code_object_version 6
	.protected	fft_rtc_fwd_len196_factors_4_7_7_wgs_56_tpt_28_dp_ip_CI_unitstride_sbrr_dirReg ; -- Begin function fft_rtc_fwd_len196_factors_4_7_7_wgs_56_tpt_28_dp_ip_CI_unitstride_sbrr_dirReg
	.globl	fft_rtc_fwd_len196_factors_4_7_7_wgs_56_tpt_28_dp_ip_CI_unitstride_sbrr_dirReg
	.p2align	8
	.type	fft_rtc_fwd_len196_factors_4_7_7_wgs_56_tpt_28_dp_ip_CI_unitstride_sbrr_dirReg,@function
fft_rtc_fwd_len196_factors_4_7_7_wgs_56_tpt_28_dp_ip_CI_unitstride_sbrr_dirReg: ; @fft_rtc_fwd_len196_factors_4_7_7_wgs_56_tpt_28_dp_ip_CI_unitstride_sbrr_dirReg
; %bb.0:
	s_load_dwordx2 s[12:13], s[4:5], 0x50
	s_load_dwordx4 s[8:11], s[4:5], 0x0
	s_load_dwordx2 s[2:3], s[4:5], 0x18
	v_mul_u32_u24_e32 v1, 0x925, v0
	v_lshrrev_b32_e32 v9, 16, v1
	v_mov_b32_e32 v3, 0
	s_waitcnt lgkmcnt(0)
	v_cmp_lt_u64_e64 s[0:1], s[10:11], 2
	v_mov_b32_e32 v1, 0
	v_lshl_add_u32 v5, s6, 1, v9
	v_mov_b32_e32 v6, v3
	s_and_b64 vcc, exec, s[0:1]
	v_mov_b32_e32 v2, 0
	s_cbranch_vccnz .LBB0_8
; %bb.1:
	s_load_dwordx2 s[0:1], s[4:5], 0x10
	s_add_u32 s6, s2, 8
	s_addc_u32 s7, s3, 0
	v_mov_b32_e32 v1, 0
	v_mov_b32_e32 v2, 0
	s_waitcnt lgkmcnt(0)
	s_add_u32 s14, s0, 8
	s_addc_u32 s15, s1, 0
	s_mov_b64 s[16:17], 1
.LBB0_2:                                ; =>This Inner Loop Header: Depth=1
	s_load_dwordx2 s[18:19], s[14:15], 0x0
                                        ; implicit-def: $vgpr7_vgpr8
	s_waitcnt lgkmcnt(0)
	v_or_b32_e32 v4, s19, v6
	v_cmp_ne_u64_e32 vcc, 0, v[3:4]
	s_and_saveexec_b64 s[0:1], vcc
	s_xor_b64 s[20:21], exec, s[0:1]
	s_cbranch_execz .LBB0_4
; %bb.3:                                ;   in Loop: Header=BB0_2 Depth=1
	v_cvt_f32_u32_e32 v4, s18
	v_cvt_f32_u32_e32 v7, s19
	s_sub_u32 s0, 0, s18
	s_subb_u32 s1, 0, s19
	v_mac_f32_e32 v4, 0x4f800000, v7
	v_rcp_f32_e32 v4, v4
	v_mul_f32_e32 v4, 0x5f7ffffc, v4
	v_mul_f32_e32 v7, 0x2f800000, v4
	v_trunc_f32_e32 v7, v7
	v_mac_f32_e32 v4, 0xcf800000, v7
	v_cvt_u32_f32_e32 v7, v7
	v_cvt_u32_f32_e32 v4, v4
	v_mul_lo_u32 v8, s0, v7
	v_mul_hi_u32 v10, s0, v4
	v_mul_lo_u32 v12, s1, v4
	v_mul_lo_u32 v11, s0, v4
	v_add_u32_e32 v8, v10, v8
	v_add_u32_e32 v8, v8, v12
	v_mul_hi_u32 v10, v4, v11
	v_mul_lo_u32 v12, v4, v8
	v_mul_hi_u32 v14, v4, v8
	v_mul_hi_u32 v13, v7, v11
	v_mul_lo_u32 v11, v7, v11
	v_mul_hi_u32 v15, v7, v8
	v_add_co_u32_e32 v10, vcc, v10, v12
	v_addc_co_u32_e32 v12, vcc, 0, v14, vcc
	v_mul_lo_u32 v8, v7, v8
	v_add_co_u32_e32 v10, vcc, v10, v11
	v_addc_co_u32_e32 v10, vcc, v12, v13, vcc
	v_addc_co_u32_e32 v11, vcc, 0, v15, vcc
	v_add_co_u32_e32 v8, vcc, v10, v8
	v_addc_co_u32_e32 v10, vcc, 0, v11, vcc
	v_add_co_u32_e32 v4, vcc, v4, v8
	v_addc_co_u32_e32 v7, vcc, v7, v10, vcc
	v_mul_lo_u32 v8, s0, v7
	v_mul_hi_u32 v10, s0, v4
	v_mul_lo_u32 v11, s1, v4
	v_mul_lo_u32 v12, s0, v4
	v_add_u32_e32 v8, v10, v8
	v_add_u32_e32 v8, v8, v11
	v_mul_lo_u32 v13, v4, v8
	v_mul_hi_u32 v14, v4, v12
	v_mul_hi_u32 v15, v4, v8
	;; [unrolled: 1-line block ×3, first 2 shown]
	v_mul_lo_u32 v12, v7, v12
	v_mul_hi_u32 v10, v7, v8
	v_add_co_u32_e32 v13, vcc, v14, v13
	v_addc_co_u32_e32 v14, vcc, 0, v15, vcc
	v_mul_lo_u32 v8, v7, v8
	v_add_co_u32_e32 v12, vcc, v13, v12
	v_addc_co_u32_e32 v11, vcc, v14, v11, vcc
	v_addc_co_u32_e32 v10, vcc, 0, v10, vcc
	v_add_co_u32_e32 v8, vcc, v11, v8
	v_addc_co_u32_e32 v10, vcc, 0, v10, vcc
	v_add_co_u32_e32 v4, vcc, v4, v8
	v_addc_co_u32_e32 v10, vcc, v7, v10, vcc
	v_mad_u64_u32 v[7:8], s[0:1], v5, v10, 0
	v_mul_hi_u32 v11, v5, v4
	v_add_co_u32_e32 v12, vcc, v11, v7
	v_addc_co_u32_e32 v13, vcc, 0, v8, vcc
	v_mad_u64_u32 v[7:8], s[0:1], v6, v4, 0
	v_mad_u64_u32 v[10:11], s[0:1], v6, v10, 0
	v_add_co_u32_e32 v4, vcc, v12, v7
	v_addc_co_u32_e32 v4, vcc, v13, v8, vcc
	v_addc_co_u32_e32 v7, vcc, 0, v11, vcc
	v_add_co_u32_e32 v4, vcc, v4, v10
	v_addc_co_u32_e32 v10, vcc, 0, v7, vcc
	v_mul_lo_u32 v11, s19, v4
	v_mul_lo_u32 v12, s18, v10
	v_mad_u64_u32 v[7:8], s[0:1], s18, v4, 0
	v_add3_u32 v8, v8, v12, v11
	v_sub_u32_e32 v11, v6, v8
	v_mov_b32_e32 v12, s19
	v_sub_co_u32_e32 v7, vcc, v5, v7
	v_subb_co_u32_e64 v11, s[0:1], v11, v12, vcc
	v_subrev_co_u32_e64 v12, s[0:1], s18, v7
	v_subbrev_co_u32_e64 v11, s[0:1], 0, v11, s[0:1]
	v_cmp_le_u32_e64 s[0:1], s19, v11
	v_cndmask_b32_e64 v13, 0, -1, s[0:1]
	v_cmp_le_u32_e64 s[0:1], s18, v12
	v_cndmask_b32_e64 v12, 0, -1, s[0:1]
	v_cmp_eq_u32_e64 s[0:1], s19, v11
	v_cndmask_b32_e64 v11, v13, v12, s[0:1]
	v_add_co_u32_e64 v12, s[0:1], 2, v4
	v_addc_co_u32_e64 v13, s[0:1], 0, v10, s[0:1]
	v_add_co_u32_e64 v14, s[0:1], 1, v4
	v_addc_co_u32_e64 v15, s[0:1], 0, v10, s[0:1]
	v_subb_co_u32_e32 v8, vcc, v6, v8, vcc
	v_cmp_ne_u32_e64 s[0:1], 0, v11
	v_cmp_le_u32_e32 vcc, s19, v8
	v_cndmask_b32_e64 v11, v15, v13, s[0:1]
	v_cndmask_b32_e64 v13, 0, -1, vcc
	v_cmp_le_u32_e32 vcc, s18, v7
	v_cndmask_b32_e64 v7, 0, -1, vcc
	v_cmp_eq_u32_e32 vcc, s19, v8
	v_cndmask_b32_e32 v7, v13, v7, vcc
	v_cmp_ne_u32_e32 vcc, 0, v7
	v_cndmask_b32_e64 v7, v14, v12, s[0:1]
	v_cndmask_b32_e32 v8, v10, v11, vcc
	v_cndmask_b32_e32 v7, v4, v7, vcc
.LBB0_4:                                ;   in Loop: Header=BB0_2 Depth=1
	s_andn2_saveexec_b64 s[0:1], s[20:21]
	s_cbranch_execz .LBB0_6
; %bb.5:                                ;   in Loop: Header=BB0_2 Depth=1
	v_cvt_f32_u32_e32 v4, s18
	s_sub_i32 s20, 0, s18
	v_rcp_iflag_f32_e32 v4, v4
	v_mul_f32_e32 v4, 0x4f7ffffe, v4
	v_cvt_u32_f32_e32 v4, v4
	v_mul_lo_u32 v7, s20, v4
	v_mul_hi_u32 v7, v4, v7
	v_add_u32_e32 v4, v4, v7
	v_mul_hi_u32 v4, v5, v4
	v_mul_lo_u32 v7, v4, s18
	v_add_u32_e32 v8, 1, v4
	v_sub_u32_e32 v7, v5, v7
	v_subrev_u32_e32 v10, s18, v7
	v_cmp_le_u32_e32 vcc, s18, v7
	v_cndmask_b32_e32 v7, v7, v10, vcc
	v_cndmask_b32_e32 v4, v4, v8, vcc
	v_add_u32_e32 v8, 1, v4
	v_cmp_le_u32_e32 vcc, s18, v7
	v_cndmask_b32_e32 v7, v4, v8, vcc
	v_mov_b32_e32 v8, v3
.LBB0_6:                                ;   in Loop: Header=BB0_2 Depth=1
	s_or_b64 exec, exec, s[0:1]
	v_mul_lo_u32 v4, v8, s18
	v_mul_lo_u32 v12, v7, s19
	v_mad_u64_u32 v[10:11], s[0:1], v7, s18, 0
	s_load_dwordx2 s[0:1], s[6:7], 0x0
	s_add_u32 s16, s16, 1
	v_add3_u32 v4, v11, v12, v4
	v_sub_co_u32_e32 v5, vcc, v5, v10
	v_subb_co_u32_e32 v4, vcc, v6, v4, vcc
	s_waitcnt lgkmcnt(0)
	v_mul_lo_u32 v4, s0, v4
	v_mul_lo_u32 v6, s1, v5
	v_mad_u64_u32 v[1:2], s[0:1], s0, v5, v[1:2]
	s_addc_u32 s17, s17, 0
	s_add_u32 s6, s6, 8
	v_add3_u32 v2, v6, v2, v4
	v_mov_b32_e32 v4, s10
	v_mov_b32_e32 v5, s11
	s_addc_u32 s7, s7, 0
	v_cmp_ge_u64_e32 vcc, s[16:17], v[4:5]
	s_add_u32 s14, s14, 8
	s_addc_u32 s15, s15, 0
	s_cbranch_vccnz .LBB0_9
; %bb.7:                                ;   in Loop: Header=BB0_2 Depth=1
	v_mov_b32_e32 v5, v7
	v_mov_b32_e32 v6, v8
	s_branch .LBB0_2
.LBB0_8:
	v_mov_b32_e32 v8, v6
	v_mov_b32_e32 v7, v5
.LBB0_9:
	s_lshl_b64 s[0:1], s[10:11], 3
	s_add_u32 s0, s2, s0
	s_addc_u32 s1, s3, s1
	s_load_dwordx2 s[2:3], s[0:1], 0x0
	s_load_dwordx2 s[6:7], s[4:5], 0x20
	v_and_b32_e32 v5, 1, v9
	s_waitcnt lgkmcnt(0)
	v_mul_lo_u32 v3, s2, v8
	v_mul_lo_u32 v4, s3, v7
	v_mad_u64_u32 v[1:2], s[0:1], s2, v7, v[1:2]
	s_mov_b32 s2, 0x924924a
	v_cmp_gt_u64_e32 vcc, s[6:7], v[7:8]
	v_add3_u32 v2, v4, v2, v3
	v_mul_hi_u32 v4, v0, s2
	v_cmp_le_u64_e64 s[2:3], s[6:7], v[7:8]
	v_cmp_eq_u32_e64 s[0:1], 1, v5
	v_mov_b32_e32 v3, 0xc4
	v_mul_u32_u24_e32 v4, 28, v4
	v_sub_u32_e32 v16, v0, v4
	v_add_u32_e32 v22, 28, v16
	s_and_saveexec_b64 s[4:5], s[2:3]
	s_xor_b64 s[2:3], exec, s[4:5]
; %bb.10:
	v_add_u32_e32 v22, 28, v16
; %bb.11:
	s_or_saveexec_b64 s[2:3], s[2:3]
	v_cndmask_b32_e64 v0, 0, v3, s[0:1]
	v_lshlrev_b64 v[18:19], 4, v[1:2]
	v_lshlrev_b32_e32 v21, 4, v0
	v_lshlrev_b32_e32 v0, 4, v16
	s_xor_b64 exec, exec, s[2:3]
	s_cbranch_execz .LBB0_13
; %bb.12:
	v_mov_b32_e32 v17, 0
	v_mov_b32_e32 v1, s13
	v_add_co_u32_e64 v3, s[0:1], s12, v18
	v_addc_co_u32_e64 v4, s[0:1], v1, v19, s[0:1]
	v_lshlrev_b64 v[1:2], 4, v[16:17]
	v_add_co_u32_e64 v13, s[0:1], v3, v1
	v_addc_co_u32_e64 v14, s[0:1], v4, v2, s[0:1]
	global_load_dwordx4 v[1:4], v[13:14], off
	global_load_dwordx4 v[5:8], v[13:14], off offset:448
	global_load_dwordx4 v[9:12], v[13:14], off offset:896
	;; [unrolled: 1-line block ×6, first 2 shown]
	v_add3_u32 v13, 0, v21, v0
	s_waitcnt vmcnt(6)
	ds_write_b128 v13, v[1:4]
	s_waitcnt vmcnt(5)
	ds_write_b128 v13, v[5:8] offset:448
	s_waitcnt vmcnt(4)
	ds_write_b128 v13, v[9:12] offset:896
	;; [unrolled: 2-line block ×6, first 2 shown]
.LBB0_13:
	s_or_b64 exec, exec, s[2:3]
	v_add3_u32 v17, 0, v0, v21
	s_waitcnt lgkmcnt(0)
	; wave barrier
	s_waitcnt lgkmcnt(0)
	ds_read_b128 v[4:7], v17 offset:2352
	v_add3_u32 v20, 0, v21, v0
	ds_read_b128 v[23:26], v17 offset:784
	ds_read_b128 v[27:30], v17 offset:1568
	;; [unrolled: 1-line block ×4, first 2 shown]
	ds_read_b128 v[31:34], v20
	v_cmp_gt_u32_e64 s[0:1], 21, v16
	s_waitcnt lgkmcnt(4)
	v_add_f64 v[35:36], v[23:24], -v[4:5]
	v_add_f64 v[37:38], v[25:26], -v[6:7]
	s_waitcnt lgkmcnt(0)
	v_add_f64 v[39:40], v[31:32], -v[27:28]
	v_add_f64 v[41:42], v[33:34], -v[29:30]
	ds_read_b128 v[4:7], v17 offset:448
	ds_read_b128 v[12:15], v17 offset:2016
	s_waitcnt lgkmcnt(0)
	; wave barrier
	s_waitcnt lgkmcnt(0)
	v_fma_f64 v[27:28], v[23:24], 2.0, -v[35:36]
	v_fma_f64 v[29:30], v[25:26], 2.0, -v[37:38]
	;; [unrolled: 1-line block ×4, first 2 shown]
	v_add_f64 v[23:24], v[39:40], -v[37:38]
	v_add_f64 v[25:26], v[41:42], v[35:36]
	v_add_f64 v[27:28], v[43:44], -v[27:28]
	v_add_f64 v[29:30], v[45:46], -v[29:30]
	v_fma_f64 v[31:32], v[39:40], 2.0, -v[23:24]
	v_fma_f64 v[33:34], v[41:42], 2.0, -v[25:26]
	v_mad_u32_u24 v39, v16, 48, v17
	v_fma_f64 v[35:36], v[43:44], 2.0, -v[27:28]
	v_fma_f64 v[37:38], v[45:46], 2.0, -v[29:30]
	ds_write_b128 v39, v[23:26] offset:48
	ds_write_b128 v39, v[31:34] offset:16
	;; [unrolled: 1-line block ×3, first 2 shown]
	ds_write_b128 v39, v[35:38]
	s_and_saveexec_b64 s[2:3], s[0:1]
	s_cbranch_execz .LBB0_15
; %bb.14:
	v_add_f64 v[14:15], v[6:7], -v[14:15]
	v_add_f64 v[10:11], v[2:3], -v[10:11]
	;; [unrolled: 1-line block ×4, first 2 shown]
	v_fma_f64 v[23:24], v[6:7], 2.0, -v[14:15]
	v_fma_f64 v[6:7], v[2:3], 2.0, -v[10:11]
	;; [unrolled: 1-line block ×4, first 2 shown]
	v_add_f64 v[2:3], v[14:15], v[8:9]
	v_add_f64 v[0:1], v[12:13], -v[10:11]
	v_add_f64 v[6:7], v[23:24], -v[6:7]
	;; [unrolled: 1-line block ×3, first 2 shown]
	v_fma_f64 v[10:11], v[14:15], 2.0, -v[2:3]
	v_fma_f64 v[8:9], v[12:13], 2.0, -v[0:1]
	;; [unrolled: 1-line block ×3, first 2 shown]
	v_lshlrev_b32_e32 v23, 6, v22
	v_fma_f64 v[12:13], v[25:26], 2.0, -v[4:5]
	v_add3_u32 v23, 0, v23, v21
	ds_write_b128 v23, v[8:11] offset:16
	ds_write_b128 v23, v[4:7] offset:32
	ds_write_b128 v23, v[12:15]
	ds_write_b128 v23, v[0:3] offset:48
.LBB0_15:
	s_or_b64 exec, exec, s[2:3]
	v_and_b32_e32 v15, 3, v16
	v_mul_u32_u24_e32 v0, 6, v15
	v_lshlrev_b32_e32 v48, 4, v0
	s_waitcnt lgkmcnt(0)
	; wave barrier
	s_waitcnt lgkmcnt(0)
	global_load_dwordx4 v[1:4], v48, s[8:9]
	global_load_dwordx4 v[5:8], v48, s[8:9] offset:16
	global_load_dwordx4 v[9:12], v48, s[8:9] offset:32
	v_lshlrev_b32_e32 v0, 4, v22
	v_add3_u32 v0, 0, v0, v21
	ds_read_b128 v[22:25], v0
	ds_read_b128 v[26:29], v17 offset:896
	global_load_dwordx4 v[34:37], v48, s[8:9] offset:64
	ds_read_b128 v[30:33], v20
	s_mov_b32 s0, 0x37e14327
	s_mov_b32 s2, 0x36b3c0b5
	;; [unrolled: 1-line block ×20, first 2 shown]
	s_waitcnt vmcnt(3) lgkmcnt(2)
	v_mul_f64 v[13:14], v[24:25], v[3:4]
	v_mul_f64 v[3:4], v[22:23], v[3:4]
	s_waitcnt vmcnt(2) lgkmcnt(1)
	v_mul_f64 v[38:39], v[28:29], v[7:8]
	v_mul_f64 v[7:8], v[26:27], v[7:8]
	v_fma_f64 v[13:14], v[22:23], v[1:2], -v[13:14]
	v_fma_f64 v[40:41], v[24:25], v[1:2], v[3:4]
	ds_read_b128 v[1:4], v17 offset:1344
	ds_read_b128 v[22:25], v17 offset:1792
	v_fma_f64 v[38:39], v[26:27], v[5:6], -v[38:39]
	v_fma_f64 v[42:43], v[28:29], v[5:6], v[7:8]
	global_load_dwordx4 v[5:8], v48, s[8:9] offset:48
	s_waitcnt vmcnt(2) lgkmcnt(1)
	v_mul_f64 v[26:27], v[3:4], v[11:12]
	v_mul_f64 v[11:12], v[1:2], v[11:12]
	v_fma_f64 v[44:45], v[1:2], v[9:10], -v[26:27]
	v_fma_f64 v[46:47], v[3:4], v[9:10], v[11:12]
	global_load_dwordx4 v[1:4], v48, s[8:9] offset:80
	ds_read_b128 v[9:12], v17 offset:2240
	ds_read_b128 v[26:29], v17 offset:2688
	s_waitcnt lgkmcnt(0)
	; wave barrier
	s_waitcnt vmcnt(2) lgkmcnt(0)
	v_mul_f64 v[48:49], v[11:12], v[36:37]
	v_fma_f64 v[48:49], v[9:10], v[34:35], -v[48:49]
	v_mul_f64 v[9:10], v[9:10], v[36:37]
	v_add_f64 v[36:37], v[38:39], -v[48:49]
	v_fma_f64 v[9:10], v[11:12], v[34:35], v[9:10]
	s_waitcnt vmcnt(0)
	v_mul_f64 v[11:12], v[28:29], v[3:4]
	v_mul_f64 v[3:4], v[26:27], v[3:4]
	v_fma_f64 v[11:12], v[26:27], v[1:2], -v[11:12]
	v_fma_f64 v[1:2], v[28:29], v[1:2], v[3:4]
	v_mul_f64 v[3:4], v[24:25], v[7:8]
	v_mul_f64 v[7:8], v[22:23], v[7:8]
	v_add_f64 v[26:27], v[42:43], v[9:10]
	v_add_f64 v[9:10], v[42:43], -v[9:10]
	v_fma_f64 v[3:4], v[22:23], v[5:6], -v[3:4]
	v_fma_f64 v[5:6], v[24:25], v[5:6], v[7:8]
	v_add_f64 v[22:23], v[40:41], v[1:2]
	v_add_f64 v[7:8], v[13:14], v[11:12]
	;; [unrolled: 1-line block ×3, first 2 shown]
	v_add_f64 v[11:12], v[13:14], -v[11:12]
	v_add_f64 v[13:14], v[40:41], -v[1:2]
	v_add_f64 v[28:29], v[44:45], v[3:4]
	v_add_f64 v[34:35], v[46:47], v[5:6]
	v_add_f64 v[38:39], v[3:4], -v[44:45]
	v_add_f64 v[3:4], v[26:27], v[22:23]
	v_add_f64 v[1:2], v[24:25], v[7:8]
	;; [unrolled: 3-line block ×4, first 2 shown]
	v_add_f64 v[1:2], v[30:31], v[40:41]
	v_add_f64 v[30:31], v[24:25], -v[7:8]
	v_add_f64 v[7:8], v[7:8], -v[28:29]
	;; [unrolled: 1-line block ×9, first 2 shown]
	v_add_f64 v[11:12], v[32:33], v[11:12]
	v_add_f64 v[32:33], v[5:6], v[9:10]
	v_add_f64 v[5:6], v[13:14], -v[5:6]
	v_add_f64 v[9:10], v[9:10], -v[13:14]
	v_mul_f64 v[7:8], v[7:8], s[0:1]
	v_mul_f64 v[22:23], v[22:23], s[0:1]
	v_fma_f64 v[40:41], v[40:41], s[20:21], v[1:2]
	v_add_f64 v[13:14], v[32:33], v[13:14]
	v_mul_f64 v[32:33], v[24:25], s[2:3]
	v_fma_f64 v[24:25], v[24:25], s[2:3], v[7:8]
	v_fma_f64 v[7:8], v[30:31], s[6:7], -v[7:8]
	v_fma_f64 v[32:33], v[30:31], s[4:5], -v[32:33]
	v_mul_f64 v[30:31], v[26:27], s[2:3]
	v_fma_f64 v[26:27], v[26:27], s[2:3], v[22:23]
	v_fma_f64 v[22:23], v[28:29], s[6:7], -v[22:23]
	v_add_f64 v[46:47], v[24:25], v[40:41]
	v_add_f64 v[24:25], v[32:33], v[40:41]
	v_fma_f64 v[30:31], v[28:29], s[4:5], -v[30:31]
	v_mul_f64 v[28:29], v[34:35], s[22:23]
	v_mul_f64 v[34:35], v[36:37], s[14:15]
	v_fma_f64 v[36:37], v[36:37], s[14:15], -v[28:29]
	v_fma_f64 v[28:29], v[38:39], s[16:17], v[28:29]
	v_fma_f64 v[34:35], v[38:39], s[10:11], -v[34:35]
	v_mul_f64 v[38:39], v[42:43], s[22:23]
	v_mul_f64 v[42:43], v[9:10], s[14:15]
	v_fma_f64 v[32:33], v[11:12], s[18:19], v[34:35]
	v_fma_f64 v[9:10], v[9:10], s[14:15], -v[38:39]
	v_fma_f64 v[38:39], v[5:6], s[16:17], v[38:39]
	v_fma_f64 v[5:6], v[5:6], s[10:11], -v[42:43]
	v_lshrrev_b32_e32 v42, 2, v16
	v_mul_u32_u24_e32 v42, 28, v42
	v_or_b32_e32 v15, v42, v15
	v_fma_f64 v[42:43], v[44:45], s[20:21], v[3:4]
	v_fma_f64 v[44:45], v[11:12], s[18:19], v[28:29]
	;; [unrolled: 1-line block ×6, first 2 shown]
	v_lshlrev_b32_e32 v15, 4, v15
	v_add_f64 v[48:49], v[26:27], v[42:43]
	v_add_f64 v[26:27], v[30:31], v[42:43]
	;; [unrolled: 1-line block ×5, first 2 shown]
	v_add_f64 v[9:10], v[24:25], -v[36:37]
	v_add_f64 v[22:23], v[36:37], v[24:25]
	v_add_f64 v[7:8], v[48:49], -v[44:45]
	v_add_f64 v[11:12], v[28:29], v[26:27]
	;; [unrolled: 2-line block ×3, first 2 shown]
	v_add_f64 v[28:29], v[34:35], -v[32:33]
	v_add_f64 v[30:31], v[30:31], -v[13:14]
	v_add_f64 v[32:33], v[32:33], v[34:35]
	v_add_f64 v[34:35], v[46:47], -v[38:39]
	v_add_f64 v[36:37], v[44:45], v[48:49]
	v_add3_u32 v13, 0, v15, v21
	ds_write_b128 v13, v[1:4]
	ds_write_b128 v13, v[5:8] offset:64
	ds_write_b128 v13, v[26:29] offset:128
	;; [unrolled: 1-line block ×6, first 2 shown]
	v_mul_u32_u24_e32 v1, 6, v16
	v_lshlrev_b32_e32 v13, 4, v1
	s_waitcnt lgkmcnt(0)
	; wave barrier
	s_waitcnt lgkmcnt(0)
	global_load_dwordx4 v[1:4], v13, s[8:9] offset:384
	global_load_dwordx4 v[5:8], v13, s[8:9] offset:400
	;; [unrolled: 1-line block ×6, first 2 shown]
	ds_read_b128 v[33:36], v0
	ds_read_b128 v[37:40], v17 offset:896
	ds_read_b128 v[41:44], v20
	s_waitcnt vmcnt(5) lgkmcnt(2)
	v_mul_f64 v[13:14], v[35:36], v[3:4]
	v_mul_f64 v[3:4], v[33:34], v[3:4]
	v_fma_f64 v[13:14], v[33:34], v[1:2], -v[13:14]
	v_fma_f64 v[33:34], v[35:36], v[1:2], v[3:4]
	s_waitcnt vmcnt(4) lgkmcnt(1)
	v_mul_f64 v[35:36], v[39:40], v[7:8]
	v_mul_f64 v[7:8], v[37:38], v[7:8]
	ds_read_b128 v[0:3], v17 offset:2240
	v_fma_f64 v[35:36], v[37:38], v[5:6], -v[35:36]
	v_fma_f64 v[37:38], v[39:40], v[5:6], v[7:8]
	ds_read_b128 v[4:7], v17 offset:2688
	s_waitcnt vmcnt(3) lgkmcnt(1)
	v_mul_f64 v[39:40], v[2:3], v[11:12]
	v_mul_f64 v[11:12], v[0:1], v[11:12]
	v_fma_f64 v[39:40], v[0:1], v[9:10], -v[39:40]
	v_fma_f64 v[8:9], v[2:3], v[9:10], v[11:12]
	s_waitcnt vmcnt(2) lgkmcnt(0)
	v_mul_f64 v[10:11], v[6:7], v[23:24]
	v_mul_f64 v[23:24], v[4:5], v[23:24]
	ds_read_b128 v[0:3], v17 offset:1344
	v_fma_f64 v[10:11], v[4:5], v[21:22], -v[10:11]
	v_fma_f64 v[21:22], v[6:7], v[21:22], v[23:24]
	ds_read_b128 v[4:7], v17 offset:1792
	s_waitcnt vmcnt(1) lgkmcnt(1)
	v_mul_f64 v[23:24], v[2:3], v[27:28]
	v_mul_f64 v[27:28], v[0:1], v[27:28]
	s_waitcnt lgkmcnt(0)
	; wave barrier
	s_waitcnt lgkmcnt(0)
	v_fma_f64 v[0:1], v[0:1], v[25:26], -v[23:24]
	v_fma_f64 v[2:3], v[2:3], v[25:26], v[27:28]
	s_waitcnt vmcnt(0)
	v_mul_f64 v[23:24], v[6:7], v[31:32]
	v_mul_f64 v[25:26], v[4:5], v[31:32]
	v_add_f64 v[27:28], v[35:36], v[39:40]
	v_add_f64 v[35:36], v[35:36], -v[39:40]
	v_fma_f64 v[4:5], v[4:5], v[29:30], -v[23:24]
	v_fma_f64 v[6:7], v[6:7], v[29:30], v[25:26]
	v_add_f64 v[23:24], v[13:14], v[10:11]
	v_add_f64 v[25:26], v[33:34], v[21:22]
	;; [unrolled: 1-line block ×3, first 2 shown]
	v_add_f64 v[10:11], v[13:14], -v[10:11]
	v_add_f64 v[12:13], v[33:34], -v[21:22]
	;; [unrolled: 1-line block ×3, first 2 shown]
	v_add_f64 v[14:15], v[0:1], v[4:5]
	v_add_f64 v[21:22], v[2:3], v[6:7]
	;; [unrolled: 1-line block ×3, first 2 shown]
	v_add_f64 v[4:5], v[4:5], -v[0:1]
	v_add_f64 v[33:34], v[29:30], v[25:26]
	v_add_f64 v[6:7], v[6:7], -v[2:3]
	v_add_f64 v[37:38], v[27:28], -v[23:24]
	;; [unrolled: 1-line block ×5, first 2 shown]
	v_add_f64 v[31:32], v[14:15], v[31:32]
	v_add_f64 v[14:15], v[14:15], -v[27:28]
	v_add_f64 v[33:34], v[21:22], v[33:34]
	v_add_f64 v[21:22], v[21:22], -v[29:30]
	v_add_f64 v[27:28], v[4:5], v[35:36]
	v_add_f64 v[29:30], v[6:7], v[8:9]
	v_mul_f64 v[23:24], v[23:24], s[0:1]
	v_mul_f64 v[25:26], v[25:26], s[0:1]
	v_add_f64 v[0:1], v[41:42], v[31:32]
	v_add_f64 v[41:42], v[4:5], -v[35:36]
	v_add_f64 v[2:3], v[43:44], v[33:34]
	v_add_f64 v[43:44], v[6:7], -v[8:9]
	v_add_f64 v[4:5], v[10:11], -v[4:5]
	;; [unrolled: 1-line block ×4, first 2 shown]
	v_add_f64 v[10:11], v[27:28], v[10:11]
	v_mul_f64 v[27:28], v[14:15], s[2:3]
	v_add_f64 v[8:9], v[8:9], -v[12:13]
	v_add_f64 v[12:13], v[29:30], v[12:13]
	v_mul_f64 v[29:30], v[21:22], s[2:3]
	v_mul_f64 v[41:42], v[41:42], s[22:23]
	;; [unrolled: 1-line block ×3, first 2 shown]
	v_fma_f64 v[14:15], v[14:15], s[2:3], v[23:24]
	v_fma_f64 v[23:24], v[37:38], s[6:7], -v[23:24]
	v_fma_f64 v[27:28], v[37:38], s[4:5], -v[27:28]
	v_mul_f64 v[37:38], v[35:36], s[14:15]
	v_fma_f64 v[21:22], v[21:22], s[2:3], v[25:26]
	v_fma_f64 v[29:30], v[39:40], s[4:5], -v[29:30]
	v_fma_f64 v[25:26], v[39:40], s[6:7], -v[25:26]
	v_mul_f64 v[39:40], v[8:9], s[14:15]
	v_fma_f64 v[35:36], v[35:36], s[14:15], -v[41:42]
	v_fma_f64 v[41:42], v[4:5], s[16:17], v[41:42]
	v_fma_f64 v[8:9], v[8:9], s[14:15], -v[43:44]
	v_fma_f64 v[43:44], v[6:7], s[16:17], v[43:44]
	v_fma_f64 v[31:32], v[31:32], s[20:21], v[0:1]
	;; [unrolled: 1-line block ×3, first 2 shown]
	v_fma_f64 v[4:5], v[4:5], s[10:11], -v[37:38]
	v_fma_f64 v[6:7], v[6:7], s[10:11], -v[39:40]
	v_fma_f64 v[35:36], v[10:11], s[18:19], v[35:36]
	v_fma_f64 v[37:38], v[10:11], s[18:19], v[41:42]
	v_fma_f64 v[41:42], v[12:13], s[18:19], v[8:9]
	v_fma_f64 v[39:40], v[12:13], s[18:19], v[43:44]
	v_add_f64 v[47:48], v[14:15], v[31:32]
	v_add_f64 v[49:50], v[21:22], v[33:34]
	v_fma_f64 v[43:44], v[10:11], s[18:19], v[4:5]
	v_fma_f64 v[45:46], v[12:13], s[18:19], v[6:7]
	v_add_f64 v[51:52], v[23:24], v[31:32]
	v_add_f64 v[53:54], v[25:26], v[33:34]
	;; [unrolled: 1-line block ×5, first 2 shown]
	v_add_f64 v[6:7], v[49:50], -v[37:38]
	v_add_f64 v[29:30], v[47:48], -v[39:40]
	v_add_f64 v[31:32], v[37:38], v[49:50]
	v_add_f64 v[8:9], v[45:46], v[51:52]
	v_add_f64 v[10:11], v[53:54], -v[43:44]
	v_add_f64 v[12:13], v[21:22], -v[41:42]
	v_add_f64 v[14:15], v[35:36], v[23:24]
	v_add_f64 v[21:22], v[41:42], v[21:22]
	v_add_f64 v[23:24], v[23:24], -v[35:36]
	v_add_f64 v[25:26], v[51:52], -v[45:46]
	v_add_f64 v[27:28], v[43:44], v[53:54]
	ds_write_b128 v17, v[0:3]
	ds_write_b128 v17, v[4:7] offset:448
	ds_write_b128 v17, v[8:11] offset:896
	;; [unrolled: 1-line block ×6, first 2 shown]
	s_waitcnt lgkmcnt(0)
	; wave barrier
	s_waitcnt lgkmcnt(0)
	s_and_saveexec_b64 s[0:1], vcc
	s_cbranch_execz .LBB0_17
; %bb.16:
	v_mov_b32_e32 v0, s13
	v_add_co_u32_e32 v10, vcc, s12, v18
	v_mov_b32_e32 v17, 0
	v_addc_co_u32_e32 v11, vcc, v0, v19, vcc
	ds_read_b128 v[0:3], v20
	ds_read_b128 v[4:7], v20 offset:448
	v_lshlrev_b64 v[8:9], 4, v[16:17]
	v_add_co_u32_e32 v21, vcc, v10, v8
	v_addc_co_u32_e32 v22, vcc, v11, v9, vcc
	s_waitcnt lgkmcnt(1)
	global_store_dwordx4 v[21:22], v[0:3], off
	s_waitcnt lgkmcnt(0)
	global_store_dwordx4 v[21:22], v[4:7], off offset:448
	ds_read_b128 v[0:3], v20 offset:896
	ds_read_b128 v[4:7], v20 offset:1344
	ds_read_b128 v[8:11], v20 offset:1792
	ds_read_b128 v[12:15], v20 offset:2240
	ds_read_b128 v[16:19], v20 offset:2688
	s_waitcnt lgkmcnt(4)
	global_store_dwordx4 v[21:22], v[0:3], off offset:896
	s_waitcnt lgkmcnt(3)
	global_store_dwordx4 v[21:22], v[4:7], off offset:1344
	s_waitcnt lgkmcnt(2)
	global_store_dwordx4 v[21:22], v[8:11], off offset:1792
	s_waitcnt lgkmcnt(1)
	global_store_dwordx4 v[21:22], v[12:15], off offset:2240
	s_waitcnt lgkmcnt(0)
	global_store_dwordx4 v[21:22], v[16:19], off offset:2688
.LBB0_17:
	s_endpgm
	.section	.rodata,"a",@progbits
	.p2align	6, 0x0
	.amdhsa_kernel fft_rtc_fwd_len196_factors_4_7_7_wgs_56_tpt_28_dp_ip_CI_unitstride_sbrr_dirReg
		.amdhsa_group_segment_fixed_size 0
		.amdhsa_private_segment_fixed_size 0
		.amdhsa_kernarg_size 88
		.amdhsa_user_sgpr_count 6
		.amdhsa_user_sgpr_private_segment_buffer 1
		.amdhsa_user_sgpr_dispatch_ptr 0
		.amdhsa_user_sgpr_queue_ptr 0
		.amdhsa_user_sgpr_kernarg_segment_ptr 1
		.amdhsa_user_sgpr_dispatch_id 0
		.amdhsa_user_sgpr_flat_scratch_init 0
		.amdhsa_user_sgpr_private_segment_size 0
		.amdhsa_uses_dynamic_stack 0
		.amdhsa_system_sgpr_private_segment_wavefront_offset 0
		.amdhsa_system_sgpr_workgroup_id_x 1
		.amdhsa_system_sgpr_workgroup_id_y 0
		.amdhsa_system_sgpr_workgroup_id_z 0
		.amdhsa_system_sgpr_workgroup_info 0
		.amdhsa_system_vgpr_workitem_id 0
		.amdhsa_next_free_vgpr 55
		.amdhsa_next_free_sgpr 24
		.amdhsa_reserve_vcc 1
		.amdhsa_reserve_flat_scratch 0
		.amdhsa_float_round_mode_32 0
		.amdhsa_float_round_mode_16_64 0
		.amdhsa_float_denorm_mode_32 3
		.amdhsa_float_denorm_mode_16_64 3
		.amdhsa_dx10_clamp 1
		.amdhsa_ieee_mode 1
		.amdhsa_fp16_overflow 0
		.amdhsa_exception_fp_ieee_invalid_op 0
		.amdhsa_exception_fp_denorm_src 0
		.amdhsa_exception_fp_ieee_div_zero 0
		.amdhsa_exception_fp_ieee_overflow 0
		.amdhsa_exception_fp_ieee_underflow 0
		.amdhsa_exception_fp_ieee_inexact 0
		.amdhsa_exception_int_div_zero 0
	.end_amdhsa_kernel
	.text
.Lfunc_end0:
	.size	fft_rtc_fwd_len196_factors_4_7_7_wgs_56_tpt_28_dp_ip_CI_unitstride_sbrr_dirReg, .Lfunc_end0-fft_rtc_fwd_len196_factors_4_7_7_wgs_56_tpt_28_dp_ip_CI_unitstride_sbrr_dirReg
                                        ; -- End function
	.section	.AMDGPU.csdata,"",@progbits
; Kernel info:
; codeLenInByte = 4308
; NumSgprs: 28
; NumVgprs: 55
; ScratchSize: 0
; MemoryBound: 0
; FloatMode: 240
; IeeeMode: 1
; LDSByteSize: 0 bytes/workgroup (compile time only)
; SGPRBlocks: 3
; VGPRBlocks: 13
; NumSGPRsForWavesPerEU: 28
; NumVGPRsForWavesPerEU: 55
; Occupancy: 4
; WaveLimiterHint : 1
; COMPUTE_PGM_RSRC2:SCRATCH_EN: 0
; COMPUTE_PGM_RSRC2:USER_SGPR: 6
; COMPUTE_PGM_RSRC2:TRAP_HANDLER: 0
; COMPUTE_PGM_RSRC2:TGID_X_EN: 1
; COMPUTE_PGM_RSRC2:TGID_Y_EN: 0
; COMPUTE_PGM_RSRC2:TGID_Z_EN: 0
; COMPUTE_PGM_RSRC2:TIDIG_COMP_CNT: 0
	.type	__hip_cuid_a34a9de3db301e6d,@object ; @__hip_cuid_a34a9de3db301e6d
	.section	.bss,"aw",@nobits
	.globl	__hip_cuid_a34a9de3db301e6d
__hip_cuid_a34a9de3db301e6d:
	.byte	0                               ; 0x0
	.size	__hip_cuid_a34a9de3db301e6d, 1

	.ident	"AMD clang version 19.0.0git (https://github.com/RadeonOpenCompute/llvm-project roc-6.4.0 25133 c7fe45cf4b819c5991fe208aaa96edf142730f1d)"
	.section	".note.GNU-stack","",@progbits
	.addrsig
	.addrsig_sym __hip_cuid_a34a9de3db301e6d
	.amdgpu_metadata
---
amdhsa.kernels:
  - .args:
      - .actual_access:  read_only
        .address_space:  global
        .offset:         0
        .size:           8
        .value_kind:     global_buffer
      - .offset:         8
        .size:           8
        .value_kind:     by_value
      - .actual_access:  read_only
        .address_space:  global
        .offset:         16
        .size:           8
        .value_kind:     global_buffer
      - .actual_access:  read_only
        .address_space:  global
        .offset:         24
        .size:           8
        .value_kind:     global_buffer
      - .offset:         32
        .size:           8
        .value_kind:     by_value
      - .actual_access:  read_only
        .address_space:  global
        .offset:         40
        .size:           8
        .value_kind:     global_buffer
      - .actual_access:  read_only
        .address_space:  global
        .offset:         48
        .size:           8
        .value_kind:     global_buffer
      - .offset:         56
        .size:           4
        .value_kind:     by_value
      - .actual_access:  read_only
        .address_space:  global
        .offset:         64
        .size:           8
        .value_kind:     global_buffer
      - .actual_access:  read_only
        .address_space:  global
        .offset:         72
        .size:           8
        .value_kind:     global_buffer
      - .address_space:  global
        .offset:         80
        .size:           8
        .value_kind:     global_buffer
    .group_segment_fixed_size: 0
    .kernarg_segment_align: 8
    .kernarg_segment_size: 88
    .language:       OpenCL C
    .language_version:
      - 2
      - 0
    .max_flat_workgroup_size: 56
    .name:           fft_rtc_fwd_len196_factors_4_7_7_wgs_56_tpt_28_dp_ip_CI_unitstride_sbrr_dirReg
    .private_segment_fixed_size: 0
    .sgpr_count:     28
    .sgpr_spill_count: 0
    .symbol:         fft_rtc_fwd_len196_factors_4_7_7_wgs_56_tpt_28_dp_ip_CI_unitstride_sbrr_dirReg.kd
    .uniform_work_group_size: 1
    .uses_dynamic_stack: false
    .vgpr_count:     55
    .vgpr_spill_count: 0
    .wavefront_size: 64
amdhsa.target:   amdgcn-amd-amdhsa--gfx906
amdhsa.version:
  - 1
  - 2
...

	.end_amdgpu_metadata
